;; amdgpu-corpus repo=ROCm/rocm-examples kind=compiled arch=gfx1250 opt=O3
	.amdgcn_target "amdgcn-amd-amdhsa--gfx1250"
	.amdhsa_code_object_version 6
	.text
	.protected	_Z25log_transformation_kernelPfm15HIP_vector_typeIjLj2EE ; -- Begin function _Z25log_transformation_kernelPfm15HIP_vector_typeIjLj2EE
	.globl	_Z25log_transformation_kernelPfm15HIP_vector_typeIjLj2EE
	.p2align	8
	.type	_Z25log_transformation_kernelPfm15HIP_vector_typeIjLj2EE,@function
_Z25log_transformation_kernelPfm15HIP_vector_typeIjLj2EE: ; @_Z25log_transformation_kernelPfm15HIP_vector_typeIjLj2EE
; %bb.0:
	s_load_u16 s9, s[0:1], 0x26
	s_bfe_u32 s2, ttmp6, 0x40010
	s_bfe_u32 s5, ttmp6, 0x40004
	s_add_co_i32 s4, s2, 1
	s_load_b64 s[2:3], s[0:1], 0x10
	s_mul_i32 s4, ttmp7, s4
	v_bfe_u32 v1, v0, 10, 10
	s_add_co_i32 s5, s5, s4
	s_getreg_b32 s4, hwreg(HW_REG_IB_STS2, 6, 4)
	s_mov_b32 s8, 0
	s_cmp_eq_u32 s4, 0
	s_cselect_b32 s5, ttmp7, s5
	s_wait_kmcnt 0x0
	v_mad_u32 v4, s5, s9, v1
	s_mov_b32 s5, exec_lo
	s_delay_alu instid0(VALU_DEP_1)
	v_cmpx_gt_u32_e64 s3, v4
	s_cbranch_execz .LBB0_6
; %bb.1:
	s_add_nc_u64 s[6:7], s[0:1], 24
	s_bfe_u32 s12, ttmp6, 0x4000c
	s_clause 0x1
	s_load_b32 s5, s[6:7], 0xc
	s_load_b64 s[10:11], s[6:7], 0x0
	s_add_co_i32 s12, s12, 1
	s_wait_xcnt 0x0
	s_and_b32 s6, ttmp6, 15
	s_mul_i32 s7, ttmp9, s12
	v_and_b32_e32 v0, 0x3ff, v0
	s_add_co_i32 s12, s6, s7
	v_mov_b32_e32 v1, 0
	s_wait_kmcnt 0x0
	s_and_b32 s13, s5, 0xffff
	s_cmp_eq_u32 s4, 0
	s_load_b128 s[4:7], s[0:1], 0x0
	s_wait_xcnt 0x0
	s_cselect_b32 s0, ttmp9, s12
	s_mul_i32 s1, s10, s13
	v_mad_u32 v5, s0, s13, v0
	s_mul_i32 s9, s11, s9
	s_delay_alu instid0(VALU_DEP_1)
	v_cmp_gt_u32_e32 vcc_lo, s2, v5
	s_branch .LBB0_3
.LBB0_2:                                ;   in Loop: Header=BB0_3 Depth=1
	s_or_b32 exec_lo, exec_lo, s10
	v_add_nc_u32_e32 v4, s9, v4
	s_delay_alu instid0(VALU_DEP_1) | instskip(SKIP_1) | instid1(SALU_CYCLE_1)
	v_cmp_le_u32_e64 s0, s3, v4
	s_or_b32 s8, s0, s8
	s_and_not1_b32 exec_lo, exec_lo, s8
	s_cbranch_execz .LBB0_6
.LBB0_3:                                ; =>This Loop Header: Depth=1
                                        ;     Child Loop BB0_5 Depth 2
	s_and_saveexec_b32 s10, vcc_lo
	s_cbranch_execz .LBB0_2
; %bb.4:                                ;   in Loop: Header=BB0_3 Depth=1
	s_wait_kmcnt 0x0
	v_mad_nc_u64_u32 v[2:3], s6, v4, s[4:5]
	v_mov_b32_e32 v0, v5
	s_mov_b32 s11, 0
	s_delay_alu instid0(VALU_DEP_2)
	v_mad_u32 v3, s7, v4, v3
.LBB0_5:                                ;   Parent Loop BB0_3 Depth=1
                                        ; =>  This Inner Loop Header: Depth=2
	s_delay_alu instid0(VALU_DEP_1) | instskip(SKIP_4) | instid1(VALU_DEP_1)
	v_lshl_add_u64 v[6:7], v[0:1], 2, v[2:3]
	v_add_nc_u32_e32 v0, s1, v0
	global_load_b32 v8, v[6:7], off
	s_wait_loadcnt 0x0
	v_max_num_f32_e32 v8, v8, v8
	v_max_num_f32_e32 v8, 0x34000000, v8
	s_delay_alu instid0(VALU_DEP_1) | instskip(NEXT) | instid1(VALU_DEP_1)
	v_cmp_gt_f32_e64 s0, 0x800000, v8
	v_cndmask_b32_e64 v9, 0, 32, s0
	v_cndmask_b32_e64 v10, 0, 0x41b17218, s0
	s_delay_alu instid0(VALU_DEP_2) | instskip(NEXT) | instid1(VALU_DEP_1)
	v_ldexp_f32 v8, v8, v9
	v_log_f32_e32 v8, v8
	v_nop
	s_delay_alu instid0(TRANS32_DEP_1) | instskip(SKIP_1) | instid1(VALU_DEP_2)
	v_mul_f32_e32 v9, 0x3f317217, v8
	v_cmp_gt_f32_e64 s0, 0x7f800000, |v8|
	v_fma_f32 v9, 0x3f317217, v8, -v9
	s_delay_alu instid0(VALU_DEP_1) | instskip(NEXT) | instid1(VALU_DEP_1)
	v_fmac_f32_e32 v9, 0x3377d1cf, v8
	v_fmac_f32_e32 v9, 0x3f317217, v8
	s_delay_alu instid0(VALU_DEP_1) | instskip(SKIP_1) | instid1(VALU_DEP_2)
	v_cndmask_b32_e64 v8, v8, v9, s0
	v_cmp_le_u32_e64 s0, s2, v0
	v_sub_f32_e32 v8, v8, v10
	s_or_b32 s11, s0, s11
	s_delay_alu instid0(VALU_DEP_1)
	v_xor_b32_e32 v8, 0x80000000, v8
	global_store_b32 v[6:7], v8, off
	s_wait_xcnt 0x0
	s_and_not1_b32 exec_lo, exec_lo, s11
	s_cbranch_execnz .LBB0_5
	s_branch .LBB0_2
.LBB0_6:
	s_endpgm
	.section	.rodata,"a",@progbits
	.p2align	6, 0x0
	.amdhsa_kernel _Z25log_transformation_kernelPfm15HIP_vector_typeIjLj2EE
		.amdhsa_group_segment_fixed_size 0
		.amdhsa_private_segment_fixed_size 0
		.amdhsa_kernarg_size 280
		.amdhsa_user_sgpr_count 2
		.amdhsa_user_sgpr_dispatch_ptr 0
		.amdhsa_user_sgpr_queue_ptr 0
		.amdhsa_user_sgpr_kernarg_segment_ptr 1
		.amdhsa_user_sgpr_dispatch_id 0
		.amdhsa_user_sgpr_kernarg_preload_length 0
		.amdhsa_user_sgpr_kernarg_preload_offset 0
		.amdhsa_user_sgpr_private_segment_size 0
		.amdhsa_wavefront_size32 1
		.amdhsa_uses_dynamic_stack 0
		.amdhsa_enable_private_segment 0
		.amdhsa_system_sgpr_workgroup_id_x 1
		.amdhsa_system_sgpr_workgroup_id_y 1
		.amdhsa_system_sgpr_workgroup_id_z 0
		.amdhsa_system_sgpr_workgroup_info 0
		.amdhsa_system_vgpr_workitem_id 1
		.amdhsa_next_free_vgpr 11
		.amdhsa_next_free_sgpr 14
		.amdhsa_named_barrier_count 0
		.amdhsa_reserve_vcc 1
		.amdhsa_float_round_mode_32 0
		.amdhsa_float_round_mode_16_64 0
		.amdhsa_float_denorm_mode_32 3
		.amdhsa_float_denorm_mode_16_64 3
		.amdhsa_fp16_overflow 0
		.amdhsa_memory_ordered 1
		.amdhsa_forward_progress 1
		.amdhsa_inst_pref_size 5
		.amdhsa_round_robin_scheduling 0
		.amdhsa_exception_fp_ieee_invalid_op 0
		.amdhsa_exception_fp_denorm_src 0
		.amdhsa_exception_fp_ieee_div_zero 0
		.amdhsa_exception_fp_ieee_overflow 0
		.amdhsa_exception_fp_ieee_underflow 0
		.amdhsa_exception_fp_ieee_inexact 0
		.amdhsa_exception_int_div_zero 0
	.end_amdhsa_kernel
	.text
.Lfunc_end0:
	.size	_Z25log_transformation_kernelPfm15HIP_vector_typeIjLj2EE, .Lfunc_end0-_Z25log_transformation_kernelPfm15HIP_vector_typeIjLj2EE
                                        ; -- End function
	.set _Z25log_transformation_kernelPfm15HIP_vector_typeIjLj2EE.num_vgpr, 11
	.set _Z25log_transformation_kernelPfm15HIP_vector_typeIjLj2EE.num_agpr, 0
	.set _Z25log_transformation_kernelPfm15HIP_vector_typeIjLj2EE.numbered_sgpr, 14
	.set _Z25log_transformation_kernelPfm15HIP_vector_typeIjLj2EE.num_named_barrier, 0
	.set _Z25log_transformation_kernelPfm15HIP_vector_typeIjLj2EE.private_seg_size, 0
	.set _Z25log_transformation_kernelPfm15HIP_vector_typeIjLj2EE.uses_vcc, 1
	.set _Z25log_transformation_kernelPfm15HIP_vector_typeIjLj2EE.uses_flat_scratch, 0
	.set _Z25log_transformation_kernelPfm15HIP_vector_typeIjLj2EE.has_dyn_sized_stack, 0
	.set _Z25log_transformation_kernelPfm15HIP_vector_typeIjLj2EE.has_recursion, 0
	.set _Z25log_transformation_kernelPfm15HIP_vector_typeIjLj2EE.has_indirect_call, 0
	.section	.AMDGPU.csdata,"",@progbits
; Kernel info:
; codeLenInByte = 524
; TotalNumSgprs: 16
; NumVgprs: 11
; ScratchSize: 0
; MemoryBound: 0
; FloatMode: 240
; IeeeMode: 1
; LDSByteSize: 0 bytes/workgroup (compile time only)
; SGPRBlocks: 0
; VGPRBlocks: 0
; NumSGPRsForWavesPerEU: 16
; NumVGPRsForWavesPerEU: 11
; NamedBarCnt: 0
; Occupancy: 16
; WaveLimiterHint : 0
; COMPUTE_PGM_RSRC2:SCRATCH_EN: 0
; COMPUTE_PGM_RSRC2:USER_SGPR: 2
; COMPUTE_PGM_RSRC2:TRAP_HANDLER: 0
; COMPUTE_PGM_RSRC2:TGID_X_EN: 1
; COMPUTE_PGM_RSRC2:TGID_Y_EN: 1
; COMPUTE_PGM_RSRC2:TGID_Z_EN: 0
; COMPUTE_PGM_RSRC2:TIDIG_COMP_CNT: 1
	.text
	.p2alignl 7, 3214868480
	.fill 96, 4, 3214868480
	.section	.AMDGPU.gpr_maximums,"",@progbits
	.set amdgpu.max_num_vgpr, 0
	.set amdgpu.max_num_agpr, 0
	.set amdgpu.max_num_sgpr, 0
	.text
	.type	__hip_cuid_28981e599041d84f,@object ; @__hip_cuid_28981e599041d84f
	.section	.bss,"aw",@nobits
	.globl	__hip_cuid_28981e599041d84f
__hip_cuid_28981e599041d84f:
	.byte	0                               ; 0x0
	.size	__hip_cuid_28981e599041d84f, 1

	.ident	"AMD clang version 22.0.0git (https://github.com/RadeonOpenCompute/llvm-project roc-7.2.4 26084 f58b06dce1f9c15707c5f808fd002e18c2accf7e)"
	.section	".note.GNU-stack","",@progbits
	.addrsig
	.addrsig_sym __hip_cuid_28981e599041d84f
	.amdgpu_metadata
---
amdhsa.kernels:
  - .args:
      - .address_space:  global
        .offset:         0
        .size:           8
        .value_kind:     global_buffer
      - .offset:         8
        .size:           8
        .value_kind:     by_value
      - .offset:         16
        .size:           8
        .value_kind:     by_value
      - .offset:         24
        .size:           4
        .value_kind:     hidden_block_count_x
      - .offset:         28
        .size:           4
        .value_kind:     hidden_block_count_y
      - .offset:         32
        .size:           4
        .value_kind:     hidden_block_count_z
      - .offset:         36
        .size:           2
        .value_kind:     hidden_group_size_x
      - .offset:         38
        .size:           2
        .value_kind:     hidden_group_size_y
      - .offset:         40
        .size:           2
        .value_kind:     hidden_group_size_z
      - .offset:         42
        .size:           2
        .value_kind:     hidden_remainder_x
      - .offset:         44
        .size:           2
        .value_kind:     hidden_remainder_y
      - .offset:         46
        .size:           2
        .value_kind:     hidden_remainder_z
      - .offset:         64
        .size:           8
        .value_kind:     hidden_global_offset_x
      - .offset:         72
        .size:           8
        .value_kind:     hidden_global_offset_y
      - .offset:         80
        .size:           8
        .value_kind:     hidden_global_offset_z
      - .offset:         88
        .size:           2
        .value_kind:     hidden_grid_dims
    .group_segment_fixed_size: 0
    .kernarg_segment_align: 8
    .kernarg_segment_size: 280
    .language:       OpenCL C
    .language_version:
      - 2
      - 0
    .max_flat_workgroup_size: 1024
    .name:           _Z25log_transformation_kernelPfm15HIP_vector_typeIjLj2EE
    .private_segment_fixed_size: 0
    .sgpr_count:     16
    .sgpr_spill_count: 0
    .symbol:         _Z25log_transformation_kernelPfm15HIP_vector_typeIjLj2EE.kd
    .uniform_work_group_size: 1
    .uses_dynamic_stack: false
    .vgpr_count:     11
    .vgpr_spill_count: 0
    .wavefront_size: 32
amdhsa.target:   amdgcn-amd-amdhsa--gfx1250
amdhsa.version:
  - 1
  - 2
...

	.end_amdgpu_metadata
